;; amdgpu-corpus repo=ROCm/rocFFT kind=compiled arch=gfx1201 opt=O3
	.text
	.amdgcn_target "amdgcn-amd-amdhsa--gfx1201"
	.amdhsa_code_object_version 6
	.protected	fft_rtc_back_len490_factors_10_7_7_wgs_210_tpt_70_half_ip_CI_unitstride_sbrr_R2C_dirReg ; -- Begin function fft_rtc_back_len490_factors_10_7_7_wgs_210_tpt_70_half_ip_CI_unitstride_sbrr_R2C_dirReg
	.globl	fft_rtc_back_len490_factors_10_7_7_wgs_210_tpt_70_half_ip_CI_unitstride_sbrr_R2C_dirReg
	.p2align	8
	.type	fft_rtc_back_len490_factors_10_7_7_wgs_210_tpt_70_half_ip_CI_unitstride_sbrr_R2C_dirReg,@function
fft_rtc_back_len490_factors_10_7_7_wgs_210_tpt_70_half_ip_CI_unitstride_sbrr_R2C_dirReg: ; @fft_rtc_back_len490_factors_10_7_7_wgs_210_tpt_70_half_ip_CI_unitstride_sbrr_R2C_dirReg
; %bb.0:
	s_load_b128 s[4:7], s[0:1], 0x0
	v_mul_u32_u24_e32 v1, 0x3a9, v0
	s_clause 0x1
	s_load_b64 s[8:9], s[0:1], 0x50
	s_load_b64 s[10:11], s[0:1], 0x18
	v_mov_b32_e32 v5, 0
	v_lshrrev_b32_e32 v1, 16, v1
	s_delay_alu instid0(VALU_DEP_1) | instskip(SKIP_3) | instid1(VALU_DEP_1)
	v_mad_co_u64_u32 v[1:2], null, ttmp9, 3, v[1:2]
	v_mov_b32_e32 v3, 0
	v_mov_b32_e32 v4, 0
	;; [unrolled: 1-line block ×4, first 2 shown]
	s_wait_kmcnt 0x0
	v_cmp_lt_u64_e64 s2, s[6:7], 2
	v_mov_b32_e32 v9, v1
	s_delay_alu instid0(VALU_DEP_2)
	s_and_b32 vcc_lo, exec_lo, s2
	s_cbranch_vccnz .LBB0_8
; %bb.1:
	s_load_b64 s[2:3], s[0:1], 0x10
	v_dual_mov_b32 v3, 0 :: v_dual_mov_b32 v8, v2
	v_dual_mov_b32 v4, 0 :: v_dual_mov_b32 v7, v1
	s_add_nc_u64 s[12:13], s[10:11], 8
	s_mov_b64 s[14:15], 1
	s_wait_kmcnt 0x0
	s_add_nc_u64 s[16:17], s[2:3], 8
	s_mov_b32 s3, 0
.LBB0_2:                                ; =>This Inner Loop Header: Depth=1
	s_load_b64 s[18:19], s[16:17], 0x0
                                        ; implicit-def: $vgpr9_vgpr10
	s_mov_b32 s2, exec_lo
	s_wait_kmcnt 0x0
	v_or_b32_e32 v6, s19, v8
	s_delay_alu instid0(VALU_DEP_1)
	v_cmpx_ne_u64_e32 0, v[5:6]
	s_wait_alu 0xfffe
	s_xor_b32 s20, exec_lo, s2
	s_cbranch_execz .LBB0_4
; %bb.3:                                ;   in Loop: Header=BB0_2 Depth=1
	s_cvt_f32_u32 s2, s18
	s_cvt_f32_u32 s21, s19
	s_sub_nc_u64 s[24:25], 0, s[18:19]
	s_wait_alu 0xfffe
	s_delay_alu instid0(SALU_CYCLE_1) | instskip(SKIP_1) | instid1(SALU_CYCLE_2)
	s_fmamk_f32 s2, s21, 0x4f800000, s2
	s_wait_alu 0xfffe
	v_s_rcp_f32 s2, s2
	s_delay_alu instid0(TRANS32_DEP_1) | instskip(SKIP_1) | instid1(SALU_CYCLE_2)
	s_mul_f32 s2, s2, 0x5f7ffffc
	s_wait_alu 0xfffe
	s_mul_f32 s21, s2, 0x2f800000
	s_wait_alu 0xfffe
	s_delay_alu instid0(SALU_CYCLE_2) | instskip(SKIP_1) | instid1(SALU_CYCLE_2)
	s_trunc_f32 s21, s21
	s_wait_alu 0xfffe
	s_fmamk_f32 s2, s21, 0xcf800000, s2
	s_cvt_u32_f32 s23, s21
	s_wait_alu 0xfffe
	s_delay_alu instid0(SALU_CYCLE_1) | instskip(SKIP_1) | instid1(SALU_CYCLE_2)
	s_cvt_u32_f32 s22, s2
	s_wait_alu 0xfffe
	s_mul_u64 s[26:27], s[24:25], s[22:23]
	s_wait_alu 0xfffe
	s_mul_hi_u32 s29, s22, s27
	s_mul_i32 s28, s22, s27
	s_mul_hi_u32 s2, s22, s26
	s_mul_i32 s30, s23, s26
	s_wait_alu 0xfffe
	s_add_nc_u64 s[28:29], s[2:3], s[28:29]
	s_mul_hi_u32 s21, s23, s26
	s_mul_hi_u32 s31, s23, s27
	s_add_co_u32 s2, s28, s30
	s_wait_alu 0xfffe
	s_add_co_ci_u32 s2, s29, s21
	s_mul_i32 s26, s23, s27
	s_add_co_ci_u32 s27, s31, 0
	s_wait_alu 0xfffe
	s_add_nc_u64 s[26:27], s[2:3], s[26:27]
	s_wait_alu 0xfffe
	v_add_co_u32 v2, s2, s22, s26
	s_delay_alu instid0(VALU_DEP_1) | instskip(SKIP_1) | instid1(VALU_DEP_1)
	s_cmp_lg_u32 s2, 0
	s_add_co_ci_u32 s23, s23, s27
	v_readfirstlane_b32 s22, v2
	s_wait_alu 0xfffe
	s_delay_alu instid0(VALU_DEP_1)
	s_mul_u64 s[24:25], s[24:25], s[22:23]
	s_wait_alu 0xfffe
	s_mul_hi_u32 s27, s22, s25
	s_mul_i32 s26, s22, s25
	s_mul_hi_u32 s2, s22, s24
	s_mul_i32 s28, s23, s24
	s_wait_alu 0xfffe
	s_add_nc_u64 s[26:27], s[2:3], s[26:27]
	s_mul_hi_u32 s21, s23, s24
	s_mul_hi_u32 s22, s23, s25
	s_wait_alu 0xfffe
	s_add_co_u32 s2, s26, s28
	s_add_co_ci_u32 s2, s27, s21
	s_mul_i32 s24, s23, s25
	s_add_co_ci_u32 s25, s22, 0
	s_wait_alu 0xfffe
	s_add_nc_u64 s[24:25], s[2:3], s[24:25]
	s_wait_alu 0xfffe
	v_add_co_u32 v2, s2, v2, s24
	s_delay_alu instid0(VALU_DEP_1) | instskip(SKIP_1) | instid1(VALU_DEP_1)
	s_cmp_lg_u32 s2, 0
	s_add_co_ci_u32 s2, s23, s25
	v_mul_hi_u32 v6, v7, v2
	s_wait_alu 0xfffe
	v_mad_co_u64_u32 v[9:10], null, v7, s2, 0
	v_mad_co_u64_u32 v[11:12], null, v8, v2, 0
	;; [unrolled: 1-line block ×3, first 2 shown]
	s_delay_alu instid0(VALU_DEP_3) | instskip(SKIP_1) | instid1(VALU_DEP_4)
	v_add_co_u32 v2, vcc_lo, v6, v9
	s_wait_alu 0xfffd
	v_add_co_ci_u32_e32 v6, vcc_lo, 0, v10, vcc_lo
	s_delay_alu instid0(VALU_DEP_2) | instskip(SKIP_1) | instid1(VALU_DEP_2)
	v_add_co_u32 v2, vcc_lo, v2, v11
	s_wait_alu 0xfffd
	v_add_co_ci_u32_e32 v2, vcc_lo, v6, v12, vcc_lo
	s_wait_alu 0xfffd
	v_add_co_ci_u32_e32 v6, vcc_lo, 0, v14, vcc_lo
	s_delay_alu instid0(VALU_DEP_2) | instskip(SKIP_1) | instid1(VALU_DEP_2)
	v_add_co_u32 v2, vcc_lo, v2, v13
	s_wait_alu 0xfffd
	v_add_co_ci_u32_e32 v6, vcc_lo, 0, v6, vcc_lo
	s_delay_alu instid0(VALU_DEP_2) | instskip(SKIP_1) | instid1(VALU_DEP_3)
	v_mul_lo_u32 v11, s19, v2
	v_mad_co_u64_u32 v[9:10], null, s18, v2, 0
	v_mul_lo_u32 v12, s18, v6
	s_delay_alu instid0(VALU_DEP_2) | instskip(NEXT) | instid1(VALU_DEP_2)
	v_sub_co_u32 v9, vcc_lo, v7, v9
	v_add3_u32 v10, v10, v12, v11
	s_delay_alu instid0(VALU_DEP_1) | instskip(SKIP_1) | instid1(VALU_DEP_1)
	v_sub_nc_u32_e32 v11, v8, v10
	s_wait_alu 0xfffd
	v_subrev_co_ci_u32_e64 v11, s2, s19, v11, vcc_lo
	v_add_co_u32 v12, s2, v2, 2
	s_wait_alu 0xf1ff
	v_add_co_ci_u32_e64 v13, s2, 0, v6, s2
	v_sub_co_u32 v14, s2, v9, s18
	v_sub_co_ci_u32_e32 v10, vcc_lo, v8, v10, vcc_lo
	s_wait_alu 0xf1ff
	v_subrev_co_ci_u32_e64 v11, s2, 0, v11, s2
	s_delay_alu instid0(VALU_DEP_3) | instskip(NEXT) | instid1(VALU_DEP_3)
	v_cmp_le_u32_e32 vcc_lo, s18, v14
	v_cmp_eq_u32_e64 s2, s19, v10
	s_wait_alu 0xfffd
	v_cndmask_b32_e64 v14, 0, -1, vcc_lo
	v_cmp_le_u32_e32 vcc_lo, s19, v11
	s_wait_alu 0xfffd
	v_cndmask_b32_e64 v15, 0, -1, vcc_lo
	v_cmp_le_u32_e32 vcc_lo, s18, v9
	;; [unrolled: 3-line block ×3, first 2 shown]
	s_wait_alu 0xfffd
	v_cndmask_b32_e64 v16, 0, -1, vcc_lo
	v_cmp_eq_u32_e32 vcc_lo, s19, v11
	s_wait_alu 0xf1ff
	s_delay_alu instid0(VALU_DEP_2)
	v_cndmask_b32_e64 v9, v16, v9, s2
	s_wait_alu 0xfffd
	v_cndmask_b32_e32 v11, v15, v14, vcc_lo
	v_add_co_u32 v14, vcc_lo, v2, 1
	s_wait_alu 0xfffd
	v_add_co_ci_u32_e32 v15, vcc_lo, 0, v6, vcc_lo
	s_delay_alu instid0(VALU_DEP_3) | instskip(SKIP_1) | instid1(VALU_DEP_2)
	v_cmp_ne_u32_e32 vcc_lo, 0, v11
	s_wait_alu 0xfffd
	v_dual_cndmask_b32 v10, v15, v13 :: v_dual_cndmask_b32 v11, v14, v12
	v_cmp_ne_u32_e32 vcc_lo, 0, v9
	s_wait_alu 0xfffd
	s_delay_alu instid0(VALU_DEP_2) | instskip(NEXT) | instid1(VALU_DEP_3)
	v_cndmask_b32_e32 v10, v6, v10, vcc_lo
	v_cndmask_b32_e32 v9, v2, v11, vcc_lo
.LBB0_4:                                ;   in Loop: Header=BB0_2 Depth=1
	s_wait_alu 0xfffe
	s_and_not1_saveexec_b32 s2, s20
	s_cbranch_execz .LBB0_6
; %bb.5:                                ;   in Loop: Header=BB0_2 Depth=1
	v_cvt_f32_u32_e32 v2, s18
	s_sub_co_i32 s20, 0, s18
	s_delay_alu instid0(VALU_DEP_1) | instskip(NEXT) | instid1(TRANS32_DEP_1)
	v_rcp_iflag_f32_e32 v2, v2
	v_mul_f32_e32 v2, 0x4f7ffffe, v2
	s_delay_alu instid0(VALU_DEP_1) | instskip(SKIP_1) | instid1(VALU_DEP_1)
	v_cvt_u32_f32_e32 v2, v2
	s_wait_alu 0xfffe
	v_mul_lo_u32 v6, s20, v2
	s_delay_alu instid0(VALU_DEP_1) | instskip(NEXT) | instid1(VALU_DEP_1)
	v_mul_hi_u32 v6, v2, v6
	v_add_nc_u32_e32 v2, v2, v6
	s_delay_alu instid0(VALU_DEP_1) | instskip(NEXT) | instid1(VALU_DEP_1)
	v_mul_hi_u32 v2, v7, v2
	v_mul_lo_u32 v6, v2, s18
	v_add_nc_u32_e32 v9, 1, v2
	s_delay_alu instid0(VALU_DEP_2) | instskip(NEXT) | instid1(VALU_DEP_1)
	v_sub_nc_u32_e32 v6, v7, v6
	v_subrev_nc_u32_e32 v10, s18, v6
	v_cmp_le_u32_e32 vcc_lo, s18, v6
	s_wait_alu 0xfffd
	s_delay_alu instid0(VALU_DEP_2) | instskip(SKIP_2) | instid1(VALU_DEP_3)
	v_cndmask_b32_e32 v6, v6, v10, vcc_lo
	v_mov_b32_e32 v10, v5
	v_cndmask_b32_e32 v2, v2, v9, vcc_lo
	v_cmp_le_u32_e32 vcc_lo, s18, v6
	s_delay_alu instid0(VALU_DEP_2) | instskip(SKIP_1) | instid1(VALU_DEP_1)
	v_add_nc_u32_e32 v9, 1, v2
	s_wait_alu 0xfffd
	v_cndmask_b32_e32 v9, v2, v9, vcc_lo
.LBB0_6:                                ;   in Loop: Header=BB0_2 Depth=1
	s_wait_alu 0xfffe
	s_or_b32 exec_lo, exec_lo, s2
	s_load_b64 s[20:21], s[12:13], 0x0
	v_mul_lo_u32 v2, v10, s18
	v_mul_lo_u32 v6, v9, s19
	v_mad_co_u64_u32 v[11:12], null, v9, s18, 0
	s_add_nc_u64 s[14:15], s[14:15], 1
	s_add_nc_u64 s[12:13], s[12:13], 8
	s_wait_alu 0xfffe
	v_cmp_ge_u64_e64 s2, s[14:15], s[6:7]
	s_add_nc_u64 s[16:17], s[16:17], 8
	s_delay_alu instid0(VALU_DEP_2) | instskip(NEXT) | instid1(VALU_DEP_3)
	v_add3_u32 v2, v12, v6, v2
	v_sub_co_u32 v6, vcc_lo, v7, v11
	s_wait_alu 0xfffd
	s_delay_alu instid0(VALU_DEP_2) | instskip(SKIP_3) | instid1(VALU_DEP_2)
	v_sub_co_ci_u32_e32 v2, vcc_lo, v8, v2, vcc_lo
	s_and_b32 vcc_lo, exec_lo, s2
	s_wait_kmcnt 0x0
	v_mul_lo_u32 v7, s21, v6
	v_mul_lo_u32 v2, s20, v2
	v_mad_co_u64_u32 v[3:4], null, s20, v6, v[3:4]
	s_delay_alu instid0(VALU_DEP_1)
	v_add3_u32 v4, v7, v4, v2
	s_wait_alu 0xfffe
	s_cbranch_vccnz .LBB0_8
; %bb.7:                                ;   in Loop: Header=BB0_2 Depth=1
	v_dual_mov_b32 v7, v9 :: v_dual_mov_b32 v8, v10
	s_branch .LBB0_2
.LBB0_8:
	s_lshl_b64 s[2:3], s[6:7], 3
	v_mul_hi_u32 v2, 0xaaaaaaab, v1
	s_wait_alu 0xfffe
	s_add_nc_u64 s[2:3], s[10:11], s[2:3]
	s_load_b64 s[0:1], s[0:1], 0x20
	s_load_b64 s[2:3], s[2:3], 0x0
	v_mul_hi_u32 v5, 0x3a83a84, v0
	s_delay_alu instid0(VALU_DEP_2) | instskip(NEXT) | instid1(VALU_DEP_1)
	v_lshrrev_b32_e32 v2, 1, v2
	v_lshl_add_u32 v6, v2, 1, v2
	s_delay_alu instid0(VALU_DEP_1)
	v_sub_nc_u32_e32 v1, v1, v6
	s_wait_kmcnt 0x0
	v_cmp_gt_u64_e32 vcc_lo, s[0:1], v[9:10]
	v_mul_lo_u32 v7, s2, v10
	v_mul_lo_u32 v8, s3, v9
	v_mad_co_u64_u32 v[2:3], null, s2, v9, v[3:4]
	v_mul_u32_u24_e32 v4, 0x46, v5
	v_mul_u32_u24_e32 v1, 0x1eb, v1
	s_delay_alu instid0(VALU_DEP_2) | instskip(NEXT) | instid1(VALU_DEP_4)
	v_sub_nc_u32_e32 v0, v0, v4
	v_add3_u32 v3, v8, v3, v7
	s_delay_alu instid0(VALU_DEP_3) | instskip(NEXT) | instid1(VALU_DEP_3)
	v_lshlrev_b32_e32 v17, 2, v1
	v_lshlrev_b32_e32 v13, 2, v0
	s_delay_alu instid0(VALU_DEP_3)
	v_lshlrev_b64_e32 v[2:3], 2, v[2:3]
	s_and_saveexec_b32 s1, vcc_lo
	s_cbranch_execz .LBB0_10
; %bb.9:
	v_mov_b32_e32 v1, 0
	s_delay_alu instid0(VALU_DEP_1) | instskip(NEXT) | instid1(VALU_DEP_3)
	v_lshlrev_b64_e32 v[4:5], 2, v[0:1]
	v_add_co_u32 v1, s0, s8, v2
	s_wait_alu 0xf1ff
	v_add_co_ci_u32_e64 v6, s0, s9, v3, s0
	s_delay_alu instid0(VALU_DEP_2) | instskip(SKIP_1) | instid1(VALU_DEP_2)
	v_add_co_u32 v4, s0, v1, v4
	s_wait_alu 0xf1ff
	v_add_co_ci_u32_e64 v5, s0, v6, v5, s0
	s_clause 0x6
	global_load_b32 v1, v[4:5], off
	global_load_b32 v6, v[4:5], off offset:280
	global_load_b32 v7, v[4:5], off offset:560
	global_load_b32 v8, v[4:5], off offset:840
	global_load_b32 v9, v[4:5], off offset:1120
	global_load_b32 v10, v[4:5], off offset:1400
	global_load_b32 v4, v[4:5], off offset:1680
	v_add3_u32 v5, 0, v17, v13
	s_delay_alu instid0(VALU_DEP_1)
	v_add_nc_u32_e32 v11, 0x400, v5
	s_wait_loadcnt 0x5
	ds_store_2addr_b32 v5, v1, v6 offset1:70
	s_wait_loadcnt 0x3
	ds_store_2addr_b32 v5, v7, v8 offset0:140 offset1:210
	s_wait_loadcnt 0x1
	ds_store_2addr_b32 v11, v9, v10 offset0:24 offset1:94
	s_wait_loadcnt 0x0
	ds_store_b32 v5, v4 offset:1680
.LBB0_10:
	s_wait_alu 0xfffe
	s_or_b32 exec_lo, exec_lo, s1
	v_add_nc_u32_e32 v18, 0, v13
	v_add_nc_u32_e32 v1, 0, v17
	global_wb scope:SCOPE_SE
	s_wait_dscnt 0x0
	s_barrier_signal -1
	s_barrier_wait -1
	v_add_nc_u32_e32 v14, v18, v17
	v_add_nc_u32_e32 v12, v1, v13
	global_inv scope:SCOPE_SE
	s_mov_b32 s1, exec_lo
	v_add_nc_u32_e32 v16, 0x200, v14
	v_add_nc_u32_e32 v15, 0x400, v14
	ds_load_2addr_b32 v[10:11], v14 offset0:49 offset1:98
	ds_load_2addr_b32 v[8:9], v14 offset0:147 offset1:196
	;; [unrolled: 1-line block ×4, first 2 shown]
	ds_load_b32 v19, v12
	ds_load_b32 v20, v14 offset:1764
	global_wb scope:SCOPE_SE
	s_wait_dscnt 0x0
	s_barrier_signal -1
	s_barrier_wait -1
	global_inv scope:SCOPE_SE
	v_cmpx_gt_u32_e32 49, v0
	s_cbranch_execz .LBB0_12
; %bb.11:
	v_lshrrev_b32_e32 v21, 16, v9
	v_lshrrev_b32_e32 v22, 16, v7
	;; [unrolled: 1-line block ×4, first 2 shown]
	v_sub_f16_e32 v37, v20, v4
	v_sub_f16_e32 v44, v8, v6
	v_lshrrev_b32_e32 v25, 16, v19
	v_add_f16_e32 v26, v21, v22
	v_lshrrev_b32_e32 v27, 16, v6
	v_lshrrev_b32_e32 v28, 16, v4
	v_add_f16_e32 v37, v44, v37
	v_add_f16_e32 v44, v23, v24
	v_fma_f16 v26, -0.5, v26, v25
	v_lshrrev_b32_e32 v35, 16, v8
	v_lshrrev_b32_e32 v36, 16, v20
	v_sub_f16_e32 v46, v27, v28
	v_fmac_f16_e32 v25, -0.5, v44
	v_add_f16_e32 v44, v8, v20
	v_add_f16_e32 v32, v27, v28
	v_lshrrev_b32_e32 v33, 16, v10
	v_add_f16_e32 v48, v35, v36
	v_add_f16_e32 v34, v6, v4
	v_fma_f16 v44, -0.5, v44, v10
	v_sub_f16_e32 v39, v35, v36
	v_sub_f16_e32 v41, v36, v28
	;; [unrolled: 1-line block ×5, first 2 shown]
	v_fmamk_f16 v52, v46, 0xbb9c, v44
	v_fmac_f16_e32 v44, 0x3b9c, v46
	v_sub_f16_e32 v31, v11, v5
	v_fma_f16 v32, -0.5, v32, v33
	v_sub_f16_e32 v40, v35, v27
	v_sub_f16_e32 v43, v6, v4
	v_fmac_f16_e32 v33, -0.5, v48
	v_sub_f16_e32 v38, v8, v20
	v_fma_f16 v34, -0.5, v34, v10
	v_add_f16_e32 v36, v51, v36
	v_fmac_f16_e32 v52, 0x38b4, v39
	v_fmac_f16_e32 v44, 0xb8b4, v39
	v_sub_f16_e32 v29, v23, v21
	v_sub_f16_e32 v30, v24, v22
	v_add_f16_e32 v40, v40, v41
	v_fmamk_f16 v41, v31, 0xbb9c, v26
	v_sub_f16_e32 v47, v9, v7
	v_sub_f16_e32 v27, v27, v35
	v_fmamk_f16 v35, v43, 0x3b9c, v33
	v_fmac_f16_e32 v33, 0xbb9c, v43
	v_fmac_f16_e32 v26, 0x3b9c, v31
	v_fmamk_f16 v42, v38, 0xbb9c, v32
	v_fmamk_f16 v45, v39, 0x3b9c, v34
	v_fmac_f16_e32 v52, 0x34f2, v36
	v_fmac_f16_e32 v34, 0xbb9c, v39
	;; [unrolled: 1-line block ×4, first 2 shown]
	v_add_f16_e32 v36, v9, v7
	v_add_f16_e32 v29, v29, v30
	v_fmac_f16_e32 v41, 0xb8b4, v47
	v_fmac_f16_e32 v35, 0xb8b4, v38
	;; [unrolled: 1-line block ×4, first 2 shown]
	v_add_f16_e32 v38, v11, v5
	v_fmac_f16_e32 v42, 0xb8b4, v43
	v_sub_f16_e32 v49, v21, v23
	v_sub_f16_e32 v50, v22, v24
	v_fmamk_f16 v48, v47, 0x3b9c, v25
	v_fmac_f16_e32 v25, 0xbb9c, v47
	v_fmac_f16_e32 v34, 0xb8b4, v46
	;; [unrolled: 1-line block ×3, first 2 shown]
	v_fma_f16 v36, -0.5, v36, v19
	v_sub_f16_e32 v23, v23, v24
	v_fmac_f16_e32 v41, 0x34f2, v29
	v_add_f16_e32 v27, v27, v28
	v_fmac_f16_e32 v26, 0x34f2, v29
	v_sub_f16_e32 v29, v5, v7
	v_sub_f16_e32 v24, v11, v9
	v_pk_add_f16 v39, v19, v11
	v_sub_f16_e32 v21, v21, v22
	v_fmac_f16_e32 v19, -0.5, v38
	v_fmac_f16_e32 v45, 0x38b4, v46
	v_fmac_f16_e32 v42, 0x34f2, v40
	v_add_f16_e32 v28, v49, v50
	v_fmac_f16_e32 v48, 0xb8b4, v31
	v_fmac_f16_e32 v25, 0x38b4, v31
	;; [unrolled: 1-line block ×4, first 2 shown]
	v_fmamk_f16 v22, v23, 0x3b9c, v36
	v_fmac_f16_e32 v36, 0xbb9c, v23
	v_pk_add_f16 v8, v10, v8
	v_fmac_f16_e32 v35, 0x34f2, v27
	v_fmac_f16_e32 v33, 0x34f2, v27
	v_add_f16_e32 v24, v24, v29
	v_sub_f16_e32 v29, v7, v5
	v_sub_f16_e32 v11, v9, v11
	v_fmamk_f16 v38, v21, 0xbb9c, v19
	v_fmac_f16_e32 v19, 0x3b9c, v21
	v_fmac_f16_e32 v45, 0x34f2, v37
	v_mul_f16_e32 v30, 0xba79, v42
	v_fmac_f16_e32 v48, 0x34f2, v28
	v_fmac_f16_e32 v25, 0x34f2, v28
	v_mul_f16_e32 v28, 0x38b4, v34
	v_fmac_f16_e32 v22, 0x38b4, v21
	v_mul_f16_e32 v42, 0xb8b4, v42
	;; [unrolled: 2-line block ×3, first 2 shown]
	v_pk_add_f16 v9, v39, v9
	v_pk_add_f16 v6, v8, v6
	v_mul_f16_e32 v50, 0xb4f2, v35
	v_mul_f16_e32 v27, 0x34f2, v33
	v_add_f16_e32 v11, v11, v29
	v_fmac_f16_e32 v38, 0x38b4, v23
	v_mul_f16_e32 v29, 0xbb9c, v35
	v_fmac_f16_e32 v19, 0xb8b4, v23
	v_mul_f16_e32 v23, 0xbb9c, v33
	v_fmac_f16_e32 v28, 0x3a79, v32
	v_fmac_f16_e32 v22, 0x34f2, v24
	;; [unrolled: 1-line block ×5, first 2 shown]
	v_pk_add_f16 v7, v9, v7
	v_pk_add_f16 v4, v6, v4
	v_fmac_f16_e32 v30, 0x38b4, v45
	v_fmac_f16_e32 v50, 0x3b9c, v52
	;; [unrolled: 1-line block ×7, first 2 shown]
	v_sub_f16_e32 v10, v22, v42
	v_add_f16_e32 v6, v26, v28
	v_add_f16_e32 v9, v22, v42
	v_mul_u32_u24_e32 v22, 36, v0
	v_pk_add_f16 v5, v7, v5
	v_pk_add_f16 v4, v4, v20
	v_add_f16_e32 v7, v36, v21
	v_sub_f16_e32 v49, v41, v30
	v_sub_f16_e32 v37, v25, v27
	;; [unrolled: 1-line block ×3, first 2 shown]
	v_add_f16_e32 v8, v41, v30
	v_add_f16_e32 v30, v48, v50
	;; [unrolled: 1-line block ×5, first 2 shown]
	v_sub_f16_e32 v40, v26, v28
	v_sub_f16_e32 v32, v36, v21
	;; [unrolled: 1-line block ×4, first 2 shown]
	v_add3_u32 v18, v18, v22, v17
	v_pk_add_f16 v21, v5, v4
	v_pack_b32_f16 v6, v7, v6
	v_pack_b32_f16 v7, v20, v30
	;; [unrolled: 1-line block ×3, first 2 shown]
	v_pk_add_f16 v4, v5, v4 neg_lo:[0,1] neg_hi:[0,1]
	v_pack_b32_f16 v5, v9, v8
	v_pack_b32_f16 v8, v24, v37
	;; [unrolled: 1-line block ×5, first 2 shown]
	ds_store_2addr_b32 v18, v21, v6 offset1:1
	ds_store_2addr_b32 v18, v19, v7 offset0:2 offset1:3
	ds_store_2addr_b32 v18, v5, v4 offset0:4 offset1:5
	ds_store_2addr_b32 v18, v9, v8 offset0:6 offset1:7
	ds_store_2addr_b32 v18, v11, v10 offset0:8 offset1:9
.LBB0_12:
	s_wait_alu 0xfffe
	s_or_b32 exec_lo, exec_lo, s1
	v_and_b32_e32 v4, 0xff, v0
	global_wb scope:SCOPE_SE
	s_wait_dscnt 0x0
	s_barrier_signal -1
	s_barrier_wait -1
	global_inv scope:SCOPE_SE
	v_mul_lo_u16 v4, 0xcd, v4
	v_mul_u32_u24_e32 v25, 6, v0
	s_mov_b32 s1, exec_lo
	s_delay_alu instid0(VALU_DEP_2) | instskip(NEXT) | instid1(VALU_DEP_2)
	v_lshrrev_b16 v22, 11, v4
	v_lshlrev_b32_e32 v25, 2, v25
	s_delay_alu instid0(VALU_DEP_2) | instskip(SKIP_1) | instid1(VALU_DEP_2)
	v_mul_lo_u16 v4, v22, 10
	v_and_b32_e32 v22, 0xffff, v22
	v_sub_nc_u16 v4, v0, v4
	s_delay_alu instid0(VALU_DEP_2) | instskip(NEXT) | instid1(VALU_DEP_2)
	v_mad_u32_u24 v22, 0x118, v22, 0
	v_and_b32_e32 v23, 0xff, v4
	s_delay_alu instid0(VALU_DEP_1) | instskip(SKIP_1) | instid1(VALU_DEP_2)
	v_mul_u32_u24_e32 v4, 6, v23
	v_lshlrev_b32_e32 v23, 2, v23
	v_lshlrev_b32_e32 v8, 2, v4
	s_delay_alu instid0(VALU_DEP_2)
	v_add3_u32 v17, v22, v23, v17
	s_clause 0x1
	global_load_b128 v[4:7], v8, s[4:5]
	global_load_b64 v[8:9], v8, s[4:5] offset:16
	ds_load_2addr_b32 v[10:11], v14 offset0:70 offset1:140
	ds_load_2addr_b32 v[18:19], v16 offset0:82 offset1:152
	;; [unrolled: 1-line block ×3, first 2 shown]
	ds_load_b32 v24, v12
	global_wb scope:SCOPE_SE
	s_wait_loadcnt_dscnt 0x0
	s_barrier_signal -1
	s_barrier_wait -1
	global_inv scope:SCOPE_SE
	v_lshrrev_b32_e32 v26, 16, v10
	v_lshrrev_b32_e32 v27, 16, v11
	;; [unrolled: 1-line block ×13, first 2 shown]
	v_mul_f16_e32 v37, v22, v26
	v_mul_f16_e32 v22, v22, v10
	;; [unrolled: 1-line block ×12, first 2 shown]
	v_fmac_f16_e32 v37, v4, v10
	v_fma_f16 v4, v4, v26, -v22
	v_fmac_f16_e32 v38, v5, v11
	v_fma_f16 v5, v5, v27, -v23
	;; [unrolled: 2-line block ×6, first 2 shown]
	v_add_f16_e32 v10, v37, v42
	v_add_f16_e32 v11, v4, v9
	v_sub_f16_e32 v4, v4, v9
	v_add_f16_e32 v9, v38, v41
	v_add_f16_e32 v19, v5, v8
	v_sub_f16_e32 v18, v37, v42
	v_sub_f16_e32 v20, v38, v41
	;; [unrolled: 1-line block ×3, first 2 shown]
	v_add_f16_e32 v8, v39, v40
	v_add_f16_e32 v21, v6, v7
	v_sub_f16_e32 v22, v40, v39
	v_sub_f16_e32 v6, v7, v6
	v_add_f16_e32 v7, v9, v10
	v_add_f16_e32 v23, v19, v11
	v_sub_f16_e32 v26, v9, v10
	v_sub_f16_e32 v27, v19, v11
	;; [unrolled: 1-line block ×6, first 2 shown]
	v_add_f16_e32 v28, v22, v20
	v_add_f16_e32 v29, v6, v5
	v_sub_f16_e32 v30, v22, v20
	v_sub_f16_e32 v31, v6, v5
	v_sub_f16_e32 v20, v20, v18
	v_add_f16_e32 v7, v8, v7
	v_add_f16_e32 v8, v21, v23
	v_sub_f16_e32 v5, v5, v4
	v_sub_f16_e32 v22, v18, v22
	;; [unrolled: 1-line block ×3, first 2 shown]
	v_add_f16_e32 v18, v28, v18
	v_add_f16_e32 v4, v29, v4
	v_mul_f16_e32 v10, 0x3a52, v10
	v_mul_f16_e32 v11, 0x3a52, v11
	;; [unrolled: 1-line block ×7, first 2 shown]
	v_add_f16_e32 v24, v7, v24
	v_add_f16_e32 v32, v8, v32
	v_mul_f16_e32 v31, 0xbb00, v5
	v_fmamk_f16 v9, v9, 0x2b26, v10
	v_fmamk_f16 v19, v19, 0x2b26, v11
	v_fma_f16 v21, v26, 0x39e0, -v21
	v_fma_f16 v23, v27, 0x39e0, -v23
	;; [unrolled: 1-line block ×4, first 2 shown]
	v_fmamk_f16 v26, v22, 0xb574, v28
	v_fmamk_f16 v27, v6, 0xb574, v29
	v_fma_f16 v20, v20, 0xbb00, -v28
	v_fma_f16 v22, v22, 0x3574, -v30
	v_fmamk_f16 v7, v7, 0xbcab, v24
	v_fmamk_f16 v8, v8, 0xbcab, v32
	v_fma_f16 v5, v5, 0xbb00, -v29
	v_fma_f16 v6, v6, 0x3574, -v31
	v_fmac_f16_e32 v26, 0xb70e, v18
	v_fmac_f16_e32 v27, 0xb70e, v4
	;; [unrolled: 1-line block ×4, first 2 shown]
	v_add_f16_e32 v9, v9, v7
	v_add_f16_e32 v18, v19, v8
	v_fmac_f16_e32 v5, 0xb70e, v4
	v_fmac_f16_e32 v6, 0xb70e, v4
	v_add_f16_e32 v19, v21, v7
	v_add_f16_e32 v7, v10, v7
	;; [unrolled: 1-line block ×5, first 2 shown]
	v_sub_f16_e32 v21, v18, v26
	v_pack_b32_f16 v4, v24, v32
	v_add_f16_e32 v23, v6, v7
	v_sub_f16_e32 v24, v10, v22
	v_sub_f16_e32 v28, v19, v5
	v_add_f16_e32 v29, v20, v8
	v_add_f16_e32 v5, v5, v19
	v_sub_f16_e32 v8, v8, v20
	v_sub_f16_e32 v6, v7, v6
	v_add_f16_e32 v7, v22, v10
	v_sub_f16_e32 v9, v9, v27
	v_add_f16_e32 v10, v26, v18
	v_pack_b32_f16 v11, v11, v21
	v_pack_b32_f16 v18, v23, v24
	v_pack_b32_f16 v19, v28, v29
	v_pack_b32_f16 v5, v5, v8
	v_pack_b32_f16 v6, v6, v7
	v_pack_b32_f16 v7, v9, v10
	ds_store_2addr_b32 v17, v4, v11 offset1:10
	ds_store_2addr_b32 v17, v18, v19 offset0:20 offset1:30
	ds_store_2addr_b32 v17, v5, v6 offset0:40 offset1:50
	ds_store_b32 v17, v7 offset:240
	global_wb scope:SCOPE_SE
	s_wait_dscnt 0x0
	s_barrier_signal -1
	s_barrier_wait -1
	global_inv scope:SCOPE_SE
	s_clause 0x1
	global_load_b128 v[4:7], v25, s[4:5] offset:240
	global_load_b64 v[8:9], v25, s[4:5] offset:256
	ds_load_2addr_b32 v[10:11], v14 offset0:70 offset1:140
	ds_load_2addr_b32 v[16:17], v16 offset0:82 offset1:152
	;; [unrolled: 1-line block ×3, first 2 shown]
	ds_load_b32 v20, v12
	global_wb scope:SCOPE_SE
	s_wait_loadcnt_dscnt 0x0
	s_barrier_signal -1
	s_barrier_wait -1
	global_inv scope:SCOPE_SE
	v_lshrrev_b32_e32 v21, 16, v10
	v_lshrrev_b32_e32 v22, 16, v11
	;; [unrolled: 1-line block ×13, first 2 shown]
	v_mul_f16_e32 v34, v28, v21
	v_mul_f16_e32 v28, v28, v10
	v_mul_f16_e32 v35, v29, v22
	v_mul_f16_e32 v29, v29, v11
	v_mul_f16_e32 v38, v32, v25
	v_mul_f16_e32 v32, v32, v18
	v_mul_f16_e32 v39, v33, v26
	v_mul_f16_e32 v33, v33, v19
	v_mul_f16_e32 v36, v30, v23
	v_mul_f16_e32 v30, v30, v16
	v_mul_f16_e32 v37, v31, v24
	v_mul_f16_e32 v31, v31, v17
	v_fmac_f16_e32 v34, v4, v10
	v_fma_f16 v4, v4, v21, -v28
	v_fmac_f16_e32 v35, v5, v11
	v_fma_f16 v5, v5, v22, -v29
	;; [unrolled: 2-line block ×6, first 2 shown]
	v_add_f16_e32 v10, v34, v39
	v_add_f16_e32 v11, v4, v9
	v_sub_f16_e32 v4, v4, v9
	v_add_f16_e32 v9, v35, v38
	v_add_f16_e32 v17, v5, v8
	v_sub_f16_e32 v16, v34, v39
	v_sub_f16_e32 v18, v35, v38
	;; [unrolled: 1-line block ×3, first 2 shown]
	v_add_f16_e32 v8, v36, v37
	v_add_f16_e32 v19, v6, v7
	v_sub_f16_e32 v21, v37, v36
	v_sub_f16_e32 v6, v7, v6
	v_add_f16_e32 v7, v9, v10
	v_add_f16_e32 v22, v17, v11
	v_sub_f16_e32 v23, v9, v10
	v_sub_f16_e32 v24, v17, v11
	v_sub_f16_e32 v10, v10, v8
	v_sub_f16_e32 v11, v11, v19
	v_sub_f16_e32 v9, v8, v9
	v_sub_f16_e32 v17, v19, v17
	v_add_f16_e32 v25, v21, v18
	v_add_f16_e32 v26, v6, v5
	v_sub_f16_e32 v28, v21, v18
	v_sub_f16_e32 v29, v6, v5
	;; [unrolled: 1-line block ×3, first 2 shown]
	v_add_f16_e32 v7, v8, v7
	v_add_f16_e32 v8, v19, v22
	v_sub_f16_e32 v5, v5, v4
	v_sub_f16_e32 v21, v16, v21
	;; [unrolled: 1-line block ×3, first 2 shown]
	v_add_f16_e32 v16, v25, v16
	v_add_f16_e32 v4, v26, v4
	v_mul_f16_e32 v10, 0x3a52, v10
	v_mul_f16_e32 v11, 0x3a52, v11
	;; [unrolled: 1-line block ×7, first 2 shown]
	v_add_f16_e32 v20, v7, v20
	v_add_f16_e32 v27, v8, v27
	v_mul_f16_e32 v29, 0xbb00, v5
	v_fmamk_f16 v9, v9, 0x2b26, v10
	v_fmamk_f16 v17, v17, 0x2b26, v11
	v_fma_f16 v19, v23, 0x39e0, -v19
	v_fma_f16 v22, v24, 0x39e0, -v22
	v_fma_f16 v10, v23, 0xb9e0, -v10
	v_fma_f16 v11, v24, 0xb9e0, -v11
	v_fmamk_f16 v23, v21, 0xb574, v25
	v_fmamk_f16 v24, v6, 0xb574, v26
	v_fma_f16 v18, v18, 0xbb00, -v25
	v_fma_f16 v21, v21, 0x3574, -v28
	v_fmamk_f16 v7, v7, 0xbcab, v20
	v_fmamk_f16 v8, v8, 0xbcab, v27
	v_fma_f16 v5, v5, 0xbb00, -v26
	v_fma_f16 v6, v6, 0x3574, -v29
	v_fmac_f16_e32 v23, 0xb70e, v16
	v_fmac_f16_e32 v24, 0xb70e, v4
	;; [unrolled: 1-line block ×4, first 2 shown]
	v_add_f16_e32 v9, v9, v7
	v_add_f16_e32 v16, v17, v8
	v_fmac_f16_e32 v5, 0xb70e, v4
	v_fmac_f16_e32 v6, 0xb70e, v4
	v_add_f16_e32 v17, v19, v7
	v_add_f16_e32 v7, v10, v7
	;; [unrolled: 1-line block ×5, first 2 shown]
	v_sub_f16_e32 v19, v16, v23
	v_pack_b32_f16 v4, v20, v27
	v_add_f16_e32 v20, v6, v7
	v_sub_f16_e32 v22, v10, v21
	v_sub_f16_e32 v25, v17, v5
	v_add_f16_e32 v26, v18, v8
	v_add_f16_e32 v5, v5, v17
	v_sub_f16_e32 v8, v8, v18
	v_sub_f16_e32 v6, v7, v6
	v_add_f16_e32 v7, v21, v10
	v_sub_f16_e32 v9, v9, v24
	v_add_f16_e32 v10, v23, v16
	v_pack_b32_f16 v11, v11, v19
	v_pack_b32_f16 v16, v20, v22
	;; [unrolled: 1-line block ×6, first 2 shown]
	ds_store_2addr_b32 v14, v4, v11 offset1:70
	ds_store_2addr_b32 v14, v16, v17 offset0:140 offset1:210
	ds_store_2addr_b32 v15, v5, v6 offset0:24 offset1:94
	ds_store_b32 v14, v7 offset:1680
	global_wb scope:SCOPE_SE
	s_wait_dscnt 0x0
	s_barrier_signal -1
	s_barrier_wait -1
	global_inv scope:SCOPE_SE
	ds_load_b32 v6, v12
	v_sub_nc_u32_e32 v8, v1, v13
                                        ; implicit-def: $vgpr11
                                        ; implicit-def: $vgpr9
                                        ; implicit-def: $vgpr10
                                        ; implicit-def: $vgpr4_vgpr5
	s_wait_dscnt 0x0
	v_lshrrev_b32_e32 v7, 16, v6
	v_cmpx_ne_u32_e32 0, v0
	s_wait_alu 0xfffe
	s_xor_b32 s1, exec_lo, s1
	s_cbranch_execz .LBB0_14
; %bb.13:
	v_mov_b32_e32 v1, 0
	s_delay_alu instid0(VALU_DEP_1) | instskip(NEXT) | instid1(VALU_DEP_1)
	v_lshlrev_b64_e32 v[4:5], 2, v[0:1]
	v_add_co_u32 v4, s0, s4, v4
	s_wait_alu 0xf1ff
	s_delay_alu instid0(VALU_DEP_2)
	v_add_co_ci_u32_e64 v5, s0, s5, v5, s0
	global_load_b32 v4, v[4:5], off offset:1920
	ds_load_b32 v5, v8 offset:1960
	s_wait_dscnt 0x0
	v_lshrrev_b32_e32 v9, 16, v5
	v_sub_f16_e32 v10, v6, v5
	v_add_f16_e32 v5, v5, v6
	s_delay_alu instid0(VALU_DEP_3) | instskip(SKIP_1) | instid1(VALU_DEP_4)
	v_add_f16_e32 v11, v9, v7
	v_sub_f16_e32 v7, v7, v9
	v_mul_f16_e32 v13, 0.5, v10
	s_delay_alu instid0(VALU_DEP_3) | instskip(NEXT) | instid1(VALU_DEP_3)
	v_mul_f16_e32 v6, 0.5, v11
	v_mul_f16_e32 v7, 0.5, v7
	s_wait_loadcnt 0x0
	v_lshrrev_b32_e32 v9, 16, v4
	s_delay_alu instid0(VALU_DEP_1) | instskip(NEXT) | instid1(VALU_DEP_3)
	v_mul_f16_e32 v10, v9, v13
	v_fma_f16 v11, v6, v9, v7
	v_fma_f16 v7, v6, v9, -v7
	s_delay_alu instid0(VALU_DEP_3) | instskip(SKIP_1) | instid1(VALU_DEP_4)
	v_fma_f16 v14, 0.5, v5, v10
	v_fma_f16 v5, v5, 0.5, -v10
	v_fma_f16 v10, -v4, v13, v11
	s_delay_alu instid0(VALU_DEP_4) | instskip(NEXT) | instid1(VALU_DEP_4)
	v_fma_f16 v11, -v4, v13, v7
                                        ; implicit-def: $vgpr7
	v_fmac_f16_e32 v14, v4, v6
	s_delay_alu instid0(VALU_DEP_4)
	v_fma_f16 v9, -v4, v6, v5
	v_dual_mov_b32 v5, v1 :: v_dual_mov_b32 v4, v0
                                        ; implicit-def: $vgpr6
                                        ; implicit-def: $vgpr1
	ds_store_b16 v12, v14
.LBB0_14:
	s_wait_alu 0xfffe
	s_and_not1_saveexec_b32 s0, s1
	s_cbranch_execz .LBB0_16
; %bb.15:
	ds_load_u16 v10, v1 offset:982
	v_dual_mov_b32 v4, 0 :: v_dual_mov_b32 v11, 0
	v_add_f16_e32 v13, v7, v6
	v_sub_f16_e32 v9, v6, v7
	v_mov_b32_e32 v5, 0
	s_wait_dscnt 0x0
	v_xor_b32_e32 v6, 0x8000, v10
	v_mov_b32_e32 v10, 0
	ds_store_b16 v12, v13
	ds_store_b16 v1, v6 offset:982
.LBB0_16:
	s_wait_alu 0xfffe
	s_or_b32 exec_lo, exec_lo, s0
	v_lshlrev_b64_e32 v[4:5], 2, v[4:5]
	s_add_nc_u64 s[0:1], s[4:5], 0x780
	v_perm_b32 v9, v11, v9, 0x5040100
	s_wait_alu 0xfffe
	s_delay_alu instid0(VALU_DEP_2)
	v_add_co_u32 v6, s0, s0, v4
	s_wait_alu 0xf1ff
	v_add_co_ci_u32_e64 v7, s0, s1, v5, s0
	s_mov_b32 s1, exec_lo
	s_clause 0x1
	global_load_b32 v1, v[6:7], off offset:280
	global_load_b32 v13, v[6:7], off offset:560
	ds_store_b16 v12, v10 offset:2
	ds_store_b32 v8, v9 offset:1960
	ds_load_b32 v9, v12 offset:280
	ds_load_b32 v10, v8 offset:1680
	s_wait_dscnt 0x0
	v_pk_add_f16 v11, v9, v10 neg_lo:[0,1] neg_hi:[0,1]
	v_pk_add_f16 v9, v9, v10
	s_delay_alu instid0(VALU_DEP_1) | instskip(SKIP_1) | instid1(VALU_DEP_2)
	v_bfi_b32 v10, 0xffff, v11, v9
	v_bfi_b32 v9, 0xffff, v9, v11
	v_pk_mul_f16 v10, v10, 0.5 op_sel_hi:[1,0]
	s_delay_alu instid0(VALU_DEP_2) | instskip(SKIP_1) | instid1(VALU_DEP_1)
	v_pk_mul_f16 v9, v9, 0.5 op_sel_hi:[1,0]
	s_wait_loadcnt 0x1
	v_pk_fma_f16 v11, v1, v10, v9 op_sel:[1,0,0]
	v_pk_mul_f16 v14, v1, v10 op_sel_hi:[0,1]
	v_pk_fma_f16 v15, v1, v10, v9 op_sel:[1,0,0] neg_lo:[1,0,0] neg_hi:[1,0,0]
	v_pk_fma_f16 v1, v1, v10, v9 op_sel:[1,0,0] neg_lo:[0,0,1] neg_hi:[0,0,1]
	s_delay_alu instid0(VALU_DEP_3) | instskip(SKIP_1) | instid1(VALU_DEP_4)
	v_pk_add_f16 v9, v11, v14 op_sel:[0,1] op_sel_hi:[1,0]
	v_pk_add_f16 v10, v11, v14 op_sel:[0,1] op_sel_hi:[1,0] neg_lo:[0,1] neg_hi:[0,1]
	v_pk_add_f16 v11, v15, v14 op_sel:[0,1] op_sel_hi:[1,0] neg_lo:[0,1] neg_hi:[0,1]
	s_delay_alu instid0(VALU_DEP_4) | instskip(NEXT) | instid1(VALU_DEP_3)
	v_pk_add_f16 v1, v1, v14 op_sel:[0,1] op_sel_hi:[1,0] neg_lo:[0,1] neg_hi:[0,1]
	v_bfi_b32 v9, 0xffff, v9, v10
	s_delay_alu instid0(VALU_DEP_2)
	v_bfi_b32 v1, 0xffff, v11, v1
	ds_store_b32 v12, v9 offset:280
	ds_store_b32 v8, v1 offset:1680
	ds_load_b32 v1, v12 offset:560
	ds_load_b32 v9, v8 offset:1400
	s_wait_dscnt 0x0
	v_pk_add_f16 v10, v1, v9 neg_lo:[0,1] neg_hi:[0,1]
	v_pk_add_f16 v1, v1, v9
	s_delay_alu instid0(VALU_DEP_1) | instskip(SKIP_1) | instid1(VALU_DEP_2)
	v_bfi_b32 v9, 0xffff, v10, v1
	v_bfi_b32 v1, 0xffff, v1, v10
	v_pk_mul_f16 v9, v9, 0.5 op_sel_hi:[1,0]
	s_delay_alu instid0(VALU_DEP_2) | instskip(SKIP_1) | instid1(VALU_DEP_2)
	v_pk_mul_f16 v1, v1, 0.5 op_sel_hi:[1,0]
	s_wait_loadcnt 0x0
	v_pk_mul_f16 v11, v13, v9 op_sel_hi:[0,1]
	s_delay_alu instid0(VALU_DEP_2) | instskip(SKIP_2) | instid1(VALU_DEP_3)
	v_pk_fma_f16 v10, v13, v9, v1 op_sel:[1,0,0]
	v_pk_fma_f16 v14, v13, v9, v1 op_sel:[1,0,0] neg_lo:[1,0,0] neg_hi:[1,0,0]
	v_pk_fma_f16 v1, v13, v9, v1 op_sel:[1,0,0] neg_lo:[0,0,1] neg_hi:[0,0,1]
	v_pk_add_f16 v9, v10, v11 op_sel:[0,1] op_sel_hi:[1,0]
	v_pk_add_f16 v10, v10, v11 op_sel:[0,1] op_sel_hi:[1,0] neg_lo:[0,1] neg_hi:[0,1]
	s_delay_alu instid0(VALU_DEP_4) | instskip(NEXT) | instid1(VALU_DEP_4)
	v_pk_add_f16 v13, v14, v11 op_sel:[0,1] op_sel_hi:[1,0] neg_lo:[0,1] neg_hi:[0,1]
	v_pk_add_f16 v1, v1, v11 op_sel:[0,1] op_sel_hi:[1,0] neg_lo:[0,1] neg_hi:[0,1]
	s_delay_alu instid0(VALU_DEP_3) | instskip(NEXT) | instid1(VALU_DEP_2)
	v_bfi_b32 v9, 0xffff, v9, v10
	v_bfi_b32 v1, 0xffff, v13, v1
	ds_store_b32 v12, v9 offset:560
	ds_store_b32 v8, v1 offset:1400
	v_cmpx_gt_u32_e32 35, v0
	s_cbranch_execz .LBB0_18
; %bb.17:
	global_load_b32 v1, v[6:7], off offset:840
	ds_load_b32 v6, v12 offset:840
	ds_load_b32 v7, v8 offset:1120
	s_wait_dscnt 0x0
	v_pk_add_f16 v9, v6, v7 neg_lo:[0,1] neg_hi:[0,1]
	v_pk_add_f16 v6, v6, v7
	s_delay_alu instid0(VALU_DEP_1) | instskip(SKIP_1) | instid1(VALU_DEP_2)
	v_bfi_b32 v7, 0xffff, v9, v6
	v_bfi_b32 v6, 0xffff, v6, v9
	v_pk_mul_f16 v7, v7, 0.5 op_sel_hi:[1,0]
	s_delay_alu instid0(VALU_DEP_2) | instskip(SKIP_1) | instid1(VALU_DEP_1)
	v_pk_mul_f16 v6, v6, 0.5 op_sel_hi:[1,0]
	s_wait_loadcnt 0x0
	v_pk_fma_f16 v9, v1, v7, v6 op_sel:[1,0,0]
	v_pk_mul_f16 v10, v1, v7 op_sel_hi:[0,1]
	v_pk_fma_f16 v11, v1, v7, v6 op_sel:[1,0,0] neg_lo:[1,0,0] neg_hi:[1,0,0]
	v_pk_fma_f16 v1, v1, v7, v6 op_sel:[1,0,0] neg_lo:[0,0,1] neg_hi:[0,0,1]
	s_delay_alu instid0(VALU_DEP_3) | instskip(SKIP_1) | instid1(VALU_DEP_4)
	v_pk_add_f16 v6, v9, v10 op_sel:[0,1] op_sel_hi:[1,0]
	v_pk_add_f16 v7, v9, v10 op_sel:[0,1] op_sel_hi:[1,0] neg_lo:[0,1] neg_hi:[0,1]
	v_pk_add_f16 v9, v11, v10 op_sel:[0,1] op_sel_hi:[1,0] neg_lo:[0,1] neg_hi:[0,1]
	s_delay_alu instid0(VALU_DEP_4) | instskip(NEXT) | instid1(VALU_DEP_3)
	v_pk_add_f16 v1, v1, v10 op_sel:[0,1] op_sel_hi:[1,0] neg_lo:[0,1] neg_hi:[0,1]
	v_bfi_b32 v6, 0xffff, v6, v7
	s_delay_alu instid0(VALU_DEP_2)
	v_bfi_b32 v1, 0xffff, v9, v1
	ds_store_b32 v12, v6 offset:840
	ds_store_b32 v8, v1 offset:1120
.LBB0_18:
	s_wait_alu 0xfffe
	s_or_b32 exec_lo, exec_lo, s1
	global_wb scope:SCOPE_SE
	s_wait_dscnt 0x0
	s_barrier_signal -1
	s_barrier_wait -1
	global_inv scope:SCOPE_SE
	s_and_saveexec_b32 s0, vcc_lo
	s_cbranch_execz .LBB0_21
; %bb.19:
	v_add_nc_u32_e32 v1, 0x400, v12
	ds_load_2addr_b32 v[6:7], v12 offset1:70
	ds_load_2addr_b32 v[8:9], v12 offset0:140 offset1:210
	ds_load_2addr_b32 v[10:11], v1 offset0:24 offset1:94
	ds_load_b32 v13, v12 offset:1680
	v_add_co_u32 v1, vcc_lo, s8, v2
	s_wait_alu 0xfffd
	v_add_co_ci_u32_e32 v2, vcc_lo, s9, v3, vcc_lo
	s_delay_alu instid0(VALU_DEP_2) | instskip(SKIP_1) | instid1(VALU_DEP_2)
	v_add_co_u32 v3, vcc_lo, v1, v4
	s_wait_alu 0xfffd
	v_add_co_ci_u32_e32 v4, vcc_lo, v2, v5, vcc_lo
	v_cmp_eq_u32_e32 vcc_lo, 0x45, v0
	s_wait_dscnt 0x3
	s_clause 0x1
	global_store_b32 v[3:4], v6, off
	global_store_b32 v[3:4], v7, off offset:280
	s_wait_dscnt 0x2
	s_clause 0x1
	global_store_b32 v[3:4], v8, off offset:560
	global_store_b32 v[3:4], v9, off offset:840
	s_wait_dscnt 0x1
	s_clause 0x1
	global_store_b32 v[3:4], v10, off offset:1120
	global_store_b32 v[3:4], v11, off offset:1400
	s_wait_dscnt 0x0
	global_store_b32 v[3:4], v13, off offset:1680
	s_and_b32 exec_lo, exec_lo, vcc_lo
	s_cbranch_execz .LBB0_21
; %bb.20:
	ds_load_b32 v0, v12 offset:1684
	s_wait_dscnt 0x0
	global_store_b32 v[1:2], v0, off offset:1960
.LBB0_21:
	s_nop 0
	s_sendmsg sendmsg(MSG_DEALLOC_VGPRS)
	s_endpgm
	.section	.rodata,"a",@progbits
	.p2align	6, 0x0
	.amdhsa_kernel fft_rtc_back_len490_factors_10_7_7_wgs_210_tpt_70_half_ip_CI_unitstride_sbrr_R2C_dirReg
		.amdhsa_group_segment_fixed_size 0
		.amdhsa_private_segment_fixed_size 0
		.amdhsa_kernarg_size 88
		.amdhsa_user_sgpr_count 2
		.amdhsa_user_sgpr_dispatch_ptr 0
		.amdhsa_user_sgpr_queue_ptr 0
		.amdhsa_user_sgpr_kernarg_segment_ptr 1
		.amdhsa_user_sgpr_dispatch_id 0
		.amdhsa_user_sgpr_private_segment_size 0
		.amdhsa_wavefront_size32 1
		.amdhsa_uses_dynamic_stack 0
		.amdhsa_enable_private_segment 0
		.amdhsa_system_sgpr_workgroup_id_x 1
		.amdhsa_system_sgpr_workgroup_id_y 0
		.amdhsa_system_sgpr_workgroup_id_z 0
		.amdhsa_system_sgpr_workgroup_info 0
		.amdhsa_system_vgpr_workitem_id 0
		.amdhsa_next_free_vgpr 53
		.amdhsa_next_free_sgpr 32
		.amdhsa_reserve_vcc 1
		.amdhsa_float_round_mode_32 0
		.amdhsa_float_round_mode_16_64 0
		.amdhsa_float_denorm_mode_32 3
		.amdhsa_float_denorm_mode_16_64 3
		.amdhsa_fp16_overflow 0
		.amdhsa_workgroup_processor_mode 1
		.amdhsa_memory_ordered 1
		.amdhsa_forward_progress 0
		.amdhsa_round_robin_scheduling 0
		.amdhsa_exception_fp_ieee_invalid_op 0
		.amdhsa_exception_fp_denorm_src 0
		.amdhsa_exception_fp_ieee_div_zero 0
		.amdhsa_exception_fp_ieee_overflow 0
		.amdhsa_exception_fp_ieee_underflow 0
		.amdhsa_exception_fp_ieee_inexact 0
		.amdhsa_exception_int_div_zero 0
	.end_amdhsa_kernel
	.text
.Lfunc_end0:
	.size	fft_rtc_back_len490_factors_10_7_7_wgs_210_tpt_70_half_ip_CI_unitstride_sbrr_R2C_dirReg, .Lfunc_end0-fft_rtc_back_len490_factors_10_7_7_wgs_210_tpt_70_half_ip_CI_unitstride_sbrr_R2C_dirReg
                                        ; -- End function
	.section	.AMDGPU.csdata,"",@progbits
; Kernel info:
; codeLenInByte = 5976
; NumSgprs: 34
; NumVgprs: 53
; ScratchSize: 0
; MemoryBound: 0
; FloatMode: 240
; IeeeMode: 1
; LDSByteSize: 0 bytes/workgroup (compile time only)
; SGPRBlocks: 4
; VGPRBlocks: 6
; NumSGPRsForWavesPerEU: 34
; NumVGPRsForWavesPerEU: 53
; Occupancy: 16
; WaveLimiterHint : 1
; COMPUTE_PGM_RSRC2:SCRATCH_EN: 0
; COMPUTE_PGM_RSRC2:USER_SGPR: 2
; COMPUTE_PGM_RSRC2:TRAP_HANDLER: 0
; COMPUTE_PGM_RSRC2:TGID_X_EN: 1
; COMPUTE_PGM_RSRC2:TGID_Y_EN: 0
; COMPUTE_PGM_RSRC2:TGID_Z_EN: 0
; COMPUTE_PGM_RSRC2:TIDIG_COMP_CNT: 0
	.text
	.p2alignl 7, 3214868480
	.fill 96, 4, 3214868480
	.type	__hip_cuid_944aa67835f9d9f,@object ; @__hip_cuid_944aa67835f9d9f
	.section	.bss,"aw",@nobits
	.globl	__hip_cuid_944aa67835f9d9f
__hip_cuid_944aa67835f9d9f:
	.byte	0                               ; 0x0
	.size	__hip_cuid_944aa67835f9d9f, 1

	.ident	"AMD clang version 19.0.0git (https://github.com/RadeonOpenCompute/llvm-project roc-6.4.0 25133 c7fe45cf4b819c5991fe208aaa96edf142730f1d)"
	.section	".note.GNU-stack","",@progbits
	.addrsig
	.addrsig_sym __hip_cuid_944aa67835f9d9f
	.amdgpu_metadata
---
amdhsa.kernels:
  - .args:
      - .actual_access:  read_only
        .address_space:  global
        .offset:         0
        .size:           8
        .value_kind:     global_buffer
      - .offset:         8
        .size:           8
        .value_kind:     by_value
      - .actual_access:  read_only
        .address_space:  global
        .offset:         16
        .size:           8
        .value_kind:     global_buffer
      - .actual_access:  read_only
        .address_space:  global
        .offset:         24
        .size:           8
        .value_kind:     global_buffer
      - .offset:         32
        .size:           8
        .value_kind:     by_value
      - .actual_access:  read_only
        .address_space:  global
        .offset:         40
        .size:           8
        .value_kind:     global_buffer
      - .actual_access:  read_only
        .address_space:  global
        .offset:         48
        .size:           8
        .value_kind:     global_buffer
      - .offset:         56
        .size:           4
        .value_kind:     by_value
      - .actual_access:  read_only
        .address_space:  global
        .offset:         64
        .size:           8
        .value_kind:     global_buffer
      - .actual_access:  read_only
        .address_space:  global
        .offset:         72
        .size:           8
        .value_kind:     global_buffer
      - .address_space:  global
        .offset:         80
        .size:           8
        .value_kind:     global_buffer
    .group_segment_fixed_size: 0
    .kernarg_segment_align: 8
    .kernarg_segment_size: 88
    .language:       OpenCL C
    .language_version:
      - 2
      - 0
    .max_flat_workgroup_size: 210
    .name:           fft_rtc_back_len490_factors_10_7_7_wgs_210_tpt_70_half_ip_CI_unitstride_sbrr_R2C_dirReg
    .private_segment_fixed_size: 0
    .sgpr_count:     34
    .sgpr_spill_count: 0
    .symbol:         fft_rtc_back_len490_factors_10_7_7_wgs_210_tpt_70_half_ip_CI_unitstride_sbrr_R2C_dirReg.kd
    .uniform_work_group_size: 1
    .uses_dynamic_stack: false
    .vgpr_count:     53
    .vgpr_spill_count: 0
    .wavefront_size: 32
    .workgroup_processor_mode: 1
amdhsa.target:   amdgcn-amd-amdhsa--gfx1201
amdhsa.version:
  - 1
  - 2
...

	.end_amdgpu_metadata
